;; amdgpu-corpus repo=ROCm/rocFFT kind=compiled arch=gfx1030 opt=O3
	.text
	.amdgcn_target "amdgcn-amd-amdhsa--gfx1030"
	.amdhsa_code_object_version 6
	.protected	fft_rtc_back_len234_factors_13_9_2_wgs_52_tpt_26_half_ip_CI_sbrr_dirReg ; -- Begin function fft_rtc_back_len234_factors_13_9_2_wgs_52_tpt_26_half_ip_CI_sbrr_dirReg
	.globl	fft_rtc_back_len234_factors_13_9_2_wgs_52_tpt_26_half_ip_CI_sbrr_dirReg
	.p2align	8
	.type	fft_rtc_back_len234_factors_13_9_2_wgs_52_tpt_26_half_ip_CI_sbrr_dirReg,@function
fft_rtc_back_len234_factors_13_9_2_wgs_52_tpt_26_half_ip_CI_sbrr_dirReg: ; @fft_rtc_back_len234_factors_13_9_2_wgs_52_tpt_26_half_ip_CI_sbrr_dirReg
; %bb.0:
	s_clause 0x2
	s_load_dwordx2 s[14:15], s[4:5], 0x18
	s_load_dwordx4 s[8:11], s[4:5], 0x0
	s_load_dwordx2 s[12:13], s[4:5], 0x50
	v_mul_u32_u24_e32 v1, 0x9d9, v0
	v_mov_b32_e32 v3, 0
	v_mov_b32_e32 v4, 0
	v_lshrrev_b32_e32 v9, 16, v1
	v_mov_b32_e32 v1, 0
	v_lshl_add_u32 v5, s6, 1, v9
	v_mov_b32_e32 v6, v1
	s_waitcnt lgkmcnt(0)
	s_load_dwordx2 s[2:3], s[14:15], 0x0
	v_cmp_lt_u64_e64 s0, s[10:11], 2
	s_and_b32 vcc_lo, exec_lo, s0
	s_cbranch_vccnz .LBB0_8
; %bb.1:
	s_load_dwordx2 s[0:1], s[4:5], 0x10
	v_mov_b32_e32 v3, 0
	s_add_u32 s6, s14, 8
	v_mov_b32_e32 v4, 0
	s_addc_u32 s7, s15, 0
	s_mov_b64 s[18:19], 1
	s_waitcnt lgkmcnt(0)
	s_add_u32 s16, s0, 8
	s_addc_u32 s17, s1, 0
.LBB0_2:                                ; =>This Inner Loop Header: Depth=1
	s_load_dwordx2 s[20:21], s[16:17], 0x0
                                        ; implicit-def: $vgpr7_vgpr8
	s_mov_b32 s0, exec_lo
	s_waitcnt lgkmcnt(0)
	v_or_b32_e32 v2, s21, v6
	v_cmpx_ne_u64_e32 0, v[1:2]
	s_xor_b32 s1, exec_lo, s0
	s_cbranch_execz .LBB0_4
; %bb.3:                                ;   in Loop: Header=BB0_2 Depth=1
	v_cvt_f32_u32_e32 v2, s20
	v_cvt_f32_u32_e32 v7, s21
	s_sub_u32 s0, 0, s20
	s_subb_u32 s22, 0, s21
	v_fmac_f32_e32 v2, 0x4f800000, v7
	v_rcp_f32_e32 v2, v2
	v_mul_f32_e32 v2, 0x5f7ffffc, v2
	v_mul_f32_e32 v7, 0x2f800000, v2
	v_trunc_f32_e32 v7, v7
	v_fmac_f32_e32 v2, 0xcf800000, v7
	v_cvt_u32_f32_e32 v7, v7
	v_cvt_u32_f32_e32 v2, v2
	v_mul_lo_u32 v8, s0, v7
	v_mul_hi_u32 v10, s0, v2
	v_mul_lo_u32 v11, s22, v2
	v_add_nc_u32_e32 v8, v10, v8
	v_mul_lo_u32 v10, s0, v2
	v_add_nc_u32_e32 v8, v8, v11
	v_mul_hi_u32 v11, v2, v10
	v_mul_lo_u32 v12, v2, v8
	v_mul_hi_u32 v13, v2, v8
	v_mul_hi_u32 v14, v7, v10
	v_mul_lo_u32 v10, v7, v10
	v_mul_hi_u32 v15, v7, v8
	v_mul_lo_u32 v8, v7, v8
	v_add_co_u32 v11, vcc_lo, v11, v12
	v_add_co_ci_u32_e32 v12, vcc_lo, 0, v13, vcc_lo
	v_add_co_u32 v10, vcc_lo, v11, v10
	v_add_co_ci_u32_e32 v10, vcc_lo, v12, v14, vcc_lo
	v_add_co_ci_u32_e32 v11, vcc_lo, 0, v15, vcc_lo
	v_add_co_u32 v8, vcc_lo, v10, v8
	v_add_co_ci_u32_e32 v10, vcc_lo, 0, v11, vcc_lo
	v_add_co_u32 v2, vcc_lo, v2, v8
	v_add_co_ci_u32_e32 v7, vcc_lo, v7, v10, vcc_lo
	v_mul_hi_u32 v8, s0, v2
	v_mul_lo_u32 v11, s22, v2
	v_mul_lo_u32 v10, s0, v7
	v_add_nc_u32_e32 v8, v8, v10
	v_mul_lo_u32 v10, s0, v2
	v_add_nc_u32_e32 v8, v8, v11
	v_mul_hi_u32 v11, v2, v10
	v_mul_lo_u32 v12, v2, v8
	v_mul_hi_u32 v13, v2, v8
	v_mul_hi_u32 v14, v7, v10
	v_mul_lo_u32 v10, v7, v10
	v_mul_hi_u32 v15, v7, v8
	v_mul_lo_u32 v8, v7, v8
	v_add_co_u32 v11, vcc_lo, v11, v12
	v_add_co_ci_u32_e32 v12, vcc_lo, 0, v13, vcc_lo
	v_add_co_u32 v10, vcc_lo, v11, v10
	v_add_co_ci_u32_e32 v10, vcc_lo, v12, v14, vcc_lo
	v_add_co_ci_u32_e32 v11, vcc_lo, 0, v15, vcc_lo
	v_add_co_u32 v8, vcc_lo, v10, v8
	v_add_co_ci_u32_e32 v10, vcc_lo, 0, v11, vcc_lo
	v_add_co_u32 v2, vcc_lo, v2, v8
	v_add_co_ci_u32_e32 v12, vcc_lo, v7, v10, vcc_lo
	v_mul_hi_u32 v14, v5, v2
	v_mad_u64_u32 v[10:11], null, v6, v2, 0
	v_mad_u64_u32 v[7:8], null, v5, v12, 0
	;; [unrolled: 1-line block ×3, first 2 shown]
	v_add_co_u32 v2, vcc_lo, v14, v7
	v_add_co_ci_u32_e32 v7, vcc_lo, 0, v8, vcc_lo
	v_add_co_u32 v2, vcc_lo, v2, v10
	v_add_co_ci_u32_e32 v2, vcc_lo, v7, v11, vcc_lo
	v_add_co_ci_u32_e32 v7, vcc_lo, 0, v13, vcc_lo
	v_add_co_u32 v2, vcc_lo, v2, v12
	v_add_co_ci_u32_e32 v10, vcc_lo, 0, v7, vcc_lo
	v_mul_lo_u32 v11, s21, v2
	v_mad_u64_u32 v[7:8], null, s20, v2, 0
	v_mul_lo_u32 v12, s20, v10
	v_sub_co_u32 v7, vcc_lo, v5, v7
	v_add3_u32 v8, v8, v12, v11
	v_sub_nc_u32_e32 v11, v6, v8
	v_subrev_co_ci_u32_e64 v11, s0, s21, v11, vcc_lo
	v_add_co_u32 v12, s0, v2, 2
	v_add_co_ci_u32_e64 v13, s0, 0, v10, s0
	v_sub_co_u32 v14, s0, v7, s20
	v_sub_co_ci_u32_e32 v8, vcc_lo, v6, v8, vcc_lo
	v_subrev_co_ci_u32_e64 v11, s0, 0, v11, s0
	v_cmp_le_u32_e32 vcc_lo, s20, v14
	v_cmp_eq_u32_e64 s0, s21, v8
	v_cndmask_b32_e64 v14, 0, -1, vcc_lo
	v_cmp_le_u32_e32 vcc_lo, s21, v11
	v_cndmask_b32_e64 v15, 0, -1, vcc_lo
	v_cmp_le_u32_e32 vcc_lo, s20, v7
	;; [unrolled: 2-line block ×3, first 2 shown]
	v_cndmask_b32_e64 v16, 0, -1, vcc_lo
	v_cmp_eq_u32_e32 vcc_lo, s21, v11
	v_cndmask_b32_e64 v7, v16, v7, s0
	v_cndmask_b32_e32 v11, v15, v14, vcc_lo
	v_add_co_u32 v14, vcc_lo, v2, 1
	v_add_co_ci_u32_e32 v15, vcc_lo, 0, v10, vcc_lo
	v_cmp_ne_u32_e32 vcc_lo, 0, v11
	v_cndmask_b32_e32 v8, v15, v13, vcc_lo
	v_cndmask_b32_e32 v11, v14, v12, vcc_lo
	v_cmp_ne_u32_e32 vcc_lo, 0, v7
	v_cndmask_b32_e32 v8, v10, v8, vcc_lo
	v_cndmask_b32_e32 v7, v2, v11, vcc_lo
.LBB0_4:                                ;   in Loop: Header=BB0_2 Depth=1
	s_andn2_saveexec_b32 s0, s1
	s_cbranch_execz .LBB0_6
; %bb.5:                                ;   in Loop: Header=BB0_2 Depth=1
	v_cvt_f32_u32_e32 v2, s20
	s_sub_i32 s1, 0, s20
	v_rcp_iflag_f32_e32 v2, v2
	v_mul_f32_e32 v2, 0x4f7ffffe, v2
	v_cvt_u32_f32_e32 v2, v2
	v_mul_lo_u32 v7, s1, v2
	v_mul_hi_u32 v7, v2, v7
	v_add_nc_u32_e32 v2, v2, v7
	v_mul_hi_u32 v2, v5, v2
	v_mul_lo_u32 v7, v2, s20
	v_add_nc_u32_e32 v8, 1, v2
	v_sub_nc_u32_e32 v7, v5, v7
	v_subrev_nc_u32_e32 v10, s20, v7
	v_cmp_le_u32_e32 vcc_lo, s20, v7
	v_cndmask_b32_e32 v7, v7, v10, vcc_lo
	v_cndmask_b32_e32 v2, v2, v8, vcc_lo
	v_cmp_le_u32_e32 vcc_lo, s20, v7
	v_add_nc_u32_e32 v8, 1, v2
	v_cndmask_b32_e32 v7, v2, v8, vcc_lo
	v_mov_b32_e32 v8, v1
.LBB0_6:                                ;   in Loop: Header=BB0_2 Depth=1
	s_or_b32 exec_lo, exec_lo, s0
	s_load_dwordx2 s[0:1], s[6:7], 0x0
	v_mul_lo_u32 v2, v8, s20
	v_mul_lo_u32 v12, v7, s21
	v_mad_u64_u32 v[10:11], null, v7, s20, 0
	s_add_u32 s18, s18, 1
	s_addc_u32 s19, s19, 0
	s_add_u32 s6, s6, 8
	s_addc_u32 s7, s7, 0
	s_add_u32 s16, s16, 8
	s_addc_u32 s17, s17, 0
	v_add3_u32 v2, v11, v12, v2
	v_sub_co_u32 v5, vcc_lo, v5, v10
	v_sub_co_ci_u32_e32 v2, vcc_lo, v6, v2, vcc_lo
	s_waitcnt lgkmcnt(0)
	v_mul_lo_u32 v6, s1, v5
	v_mul_lo_u32 v2, s0, v2
	v_mad_u64_u32 v[3:4], null, s0, v5, v[3:4]
	v_cmp_ge_u64_e64 s0, s[18:19], s[10:11]
	s_and_b32 vcc_lo, exec_lo, s0
	v_add3_u32 v4, v6, v4, v2
	s_cbranch_vccnz .LBB0_9
; %bb.7:                                ;   in Loop: Header=BB0_2 Depth=1
	v_mov_b32_e32 v5, v7
	v_mov_b32_e32 v6, v8
	s_branch .LBB0_2
.LBB0_8:
	v_mov_b32_e32 v8, v6
	v_mov_b32_e32 v7, v5
.LBB0_9:
	s_lshl_b64 s[0:1], s[10:11], 3
	v_mul_hi_u32 v1, 0x9d89d8a, v0
	s_add_u32 s0, s14, s0
	s_addc_u32 s1, s15, s1
	s_load_dwordx2 s[4:5], s[4:5], 0x20
	s_load_dwordx2 s[0:1], s[0:1], 0x0
	v_and_b32_e32 v2, 1, v9
	v_mul_u32_u24_e32 v1, 26, v1
	v_cmp_eq_u32_e32 vcc_lo, 1, v2
	v_sub_nc_u32_e32 v2, v0, v1
	v_cndmask_b32_e64 v24, 0, 0xea, vcc_lo
	v_lshlrev_b32_e32 v5, 2, v2
	v_add_nc_u32_e32 v22, 26, v2
	v_lshlrev_b32_e32 v29, 2, v24
	v_add_nc_u32_e32 v23, 52, v2
	v_add_nc_u32_e32 v21, 0x4e, v2
	s_waitcnt lgkmcnt(0)
	v_cmp_gt_u64_e32 vcc_lo, s[4:5], v[7:8]
	v_mul_lo_u32 v6, s0, v8
	v_mul_lo_u32 v9, s1, v7
	v_mad_u64_u32 v[0:1], null, s0, v7, v[3:4]
	v_add_nc_u32_e32 v20, 0x68, v2
	v_add_nc_u32_e32 v19, 0x82, v2
	;; [unrolled: 1-line block ×5, first 2 shown]
	v_add3_u32 v1, v9, v1, v6
	v_lshlrev_b64 v[0:1], 2, v[0:1]
	s_and_saveexec_b32 s1, vcc_lo
	s_cbranch_execz .LBB0_11
; %bb.10:
	v_mad_u64_u32 v[3:4], null, s2, v2, 0
	v_mad_u64_u32 v[6:7], null, s2, v22, 0
	;; [unrolled: 1-line block ×5, first 2 shown]
	v_add_nc_u32_e32 v27, 0x68, v2
	v_add_co_u32 v36, s0, s12, v0
	v_mad_u64_u32 v[13:14], null, s3, v22, v[7:8]
	v_mad_u64_u32 v[14:15], null, s2, v27, 0
	v_mov_b32_e32 v4, v12
	v_add_co_ci_u32_e64 v37, s0, s13, v1, s0
	v_mad_u64_u32 v[33:34], null, s2, v16, 0
	v_mov_b32_e32 v7, v13
	v_mad_u64_u32 v[12:13], null, s3, v23, v[9:10]
	v_lshlrev_b64 v[3:4], 2, v[3:4]
	v_lshlrev_b64 v[6:7], 2, v[6:7]
	v_mad_u64_u32 v[25:26], null, s3, v21, v[11:12]
	v_mov_b32_e32 v9, v12
	v_mov_b32_e32 v12, v15
	v_add_co_u32 v3, s0, v36, v3
	v_add_co_ci_u32_e64 v4, s0, v37, v4, s0
	v_mov_b32_e32 v11, v25
	v_mad_u64_u32 v[25:26], null, s2, v19, 0
	v_mad_u64_u32 v[12:13], null, s3, v27, v[12:13]
	;; [unrolled: 1-line block ×3, first 2 shown]
	v_lshlrev_b64 v[8:9], 2, v[8:9]
	v_add_co_u32 v6, s0, v36, v6
	v_mov_b32_e32 v13, v26
	v_mov_b32_e32 v15, v12
	v_lshlrev_b64 v[10:11], 2, v[10:11]
	v_mov_b32_e32 v12, v28
	v_add_co_ci_u32_e64 v7, s0, v37, v7, s0
	v_mad_u64_u32 v[30:31], null, s3, v19, v[13:14]
	v_mad_u64_u32 v[31:32], null, s2, v17, 0
	;; [unrolled: 1-line block ×3, first 2 shown]
	v_lshlrev_b64 v[14:15], 2, v[14:15]
	v_add_co_u32 v8, s0, v36, v8
	v_add_co_ci_u32_e64 v9, s0, v37, v9, s0
	v_mov_b32_e32 v13, v32
	v_add_co_u32 v10, s0, v36, v10
	v_mov_b32_e32 v26, v30
	v_mov_b32_e32 v28, v12
	v_mad_u64_u32 v[12:13], null, s3, v17, v[13:14]
	v_add_co_ci_u32_e64 v11, s0, v37, v11, s0
	v_mov_b32_e32 v13, v34
	v_add_co_u32 v14, s0, v36, v14
	v_lshlrev_b64 v[25:26], 2, v[25:26]
	v_mov_b32_e32 v32, v12
	v_add_co_ci_u32_e64 v15, s0, v37, v15, s0
	v_mad_u64_u32 v[34:35], null, s3, v16, v[13:14]
	v_lshlrev_b64 v[27:28], 2, v[27:28]
	v_add_co_u32 v12, s0, v36, v25
	v_add_co_ci_u32_e64 v13, s0, v37, v26, s0
	v_lshlrev_b64 v[25:26], 2, v[31:32]
	v_add_co_u32 v27, s0, v36, v27
	v_lshlrev_b64 v[30:31], 2, v[33:34]
	v_add_co_ci_u32_e64 v28, s0, v37, v28, s0
	v_add_co_u32 v25, s0, v36, v25
	v_add_co_ci_u32_e64 v26, s0, v37, v26, s0
	v_add_co_u32 v30, s0, v36, v30
	v_add_co_ci_u32_e64 v31, s0, v37, v31, s0
	s_clause 0x8
	global_load_dword v3, v[3:4], off
	global_load_dword v4, v[6:7], off
	;; [unrolled: 1-line block ×9, first 2 shown]
	v_add3_u32 v13, 0, v29, v5
	s_waitcnt vmcnt(7)
	ds_write2_b32 v13, v3, v4 offset1:26
	s_waitcnt vmcnt(5)
	ds_write2_b32 v13, v6, v7 offset0:52 offset1:78
	s_waitcnt vmcnt(3)
	ds_write2_b32 v13, v8, v9 offset0:104 offset1:130
	;; [unrolled: 2-line block ×3, first 2 shown]
	s_waitcnt vmcnt(0)
	ds_write_b32 v13, v12 offset:832
.LBB0_11:
	s_or_b32 exec_lo, exec_lo, s1
	v_add_nc_u32_e32 v27, 0, v5
	s_waitcnt lgkmcnt(0)
	s_barrier
	buffer_gl0_inv
	v_add3_u32 v25, 0, v29, v5
	v_add_nc_u32_e32 v26, v27, v29
	s_mov_b32 s1, exec_lo
	ds_read2_b32 v[3:4], v26 offset0:198 offset1:216
	ds_read2_b32 v[14:15], v26 offset0:18 offset1:36
	;; [unrolled: 1-line block ×6, first 2 shown]
	ds_read_b32 v30, v25
	s_waitcnt lgkmcnt(0)
	s_barrier
	buffer_gl0_inv
	v_pk_add_f16 v37, v14, v4 neg_lo:[0,1] neg_hi:[0,1]
	v_pk_add_f16 v42, v4, v14
	v_pk_add_f16 v35, v15, v3 neg_lo:[0,1] neg_hi:[0,1]
	v_pk_add_f16 v41, v3, v15
	v_pk_add_f16 v34, v12, v7 neg_lo:[0,1] neg_hi:[0,1]
	v_pk_mul_f16 v5, 0xbb7b, v37 op_sel_hi:[0,1]
	v_pk_add_f16 v40, v7, v12
	v_pk_mul_f16 v28, 0x394e, v35 op_sel_hi:[0,1]
	v_pk_add_f16 v32, v13, v6 neg_lo:[0,1] neg_hi:[0,1]
	v_pk_add_f16 v39, v6, v13
	v_pk_fma_f16 v49, 0xb5ac, v42, v5 op_sel:[0,0,1] op_sel_hi:[0,1,0] neg_lo:[0,0,1] neg_hi:[0,0,1]
	v_pk_fma_f16 v51, 0xb5ac, v42, v5 op_sel:[0,0,1] op_sel_hi:[0,1,0]
	v_pk_mul_f16 v5, 0x3770, v34 op_sel_hi:[0,1]
	v_pk_fma_f16 v48, 0xb9fd, v41, v28 op_sel:[0,0,1] op_sel_hi:[0,1,0] neg_lo:[0,0,1] neg_hi:[0,0,1]
	v_pk_fma_f16 v50, 0xb9fd, v41, v28 op_sel:[0,0,1] op_sel_hi:[0,1,0]
	v_add_f16_e32 v28, v30, v49
	v_add_f16_sdwa v43, v30, v51 dst_sel:DWORD dst_unused:UNUSED_PAD src0_sel:WORD_1 src1_sel:WORD_1
	v_pk_add_f16 v33, v10, v9 neg_lo:[0,1] neg_hi:[0,1]
	v_pk_mul_f16 v44, 0xbbf1, v32 op_sel_hi:[0,1]
	v_pk_fma_f16 v52, 0x3b15, v40, v5 op_sel:[0,0,1] op_sel_hi:[0,1,0] neg_lo:[0,0,1] neg_hi:[0,0,1]
	v_pk_fma_f16 v53, 0x3b15, v40, v5 op_sel:[0,0,1] op_sel_hi:[0,1,0]
	v_add_f16_e32 v5, v48, v28
	v_add_f16_sdwa v28, v50, v43 dst_sel:DWORD dst_unused:UNUSED_PAD src0_sel:WORD_1 src1_sel:DWORD
	v_pk_add_f16 v38, v9, v10
	v_pk_add_f16 v31, v11, v8 neg_lo:[0,1] neg_hi:[0,1]
	v_pk_mul_f16 v43, 0x33a8, v33 op_sel_hi:[0,1]
	v_pk_fma_f16 v54, 0x2fb7, v39, v44 op_sel:[0,0,1] op_sel_hi:[0,1,0] neg_lo:[0,0,1] neg_hi:[0,0,1]
	v_pk_fma_f16 v55, 0x2fb7, v39, v44 op_sel:[0,0,1] op_sel_hi:[0,1,0]
	v_add_f16_e32 v5, v52, v5
	v_add_f16_sdwa v28, v53, v28 dst_sel:DWORD dst_unused:UNUSED_PAD src0_sel:WORD_1 src1_sel:DWORD
	v_pk_add_f16 v36, v8, v11
	v_pk_mul_f16 v47, 0x3a95, v31 op_sel_hi:[0,1]
	v_pk_fma_f16 v44, 0xbbc4, v38, v43 op_sel:[0,0,1] op_sel_hi:[0,1,0] neg_lo:[0,0,1] neg_hi:[0,0,1]
	v_pk_fma_f16 v45, 0xbbc4, v38, v43 op_sel:[0,0,1] op_sel_hi:[0,1,0]
	v_add_f16_e32 v5, v54, v5
	v_add_f16_sdwa v28, v55, v28 dst_sel:DWORD dst_unused:UNUSED_PAD src0_sel:WORD_1 src1_sel:DWORD
	v_pk_fma_f16 v46, 0x388b, v36, v47 op_sel:[0,0,1] op_sel_hi:[0,1,0] neg_lo:[0,0,1] neg_hi:[0,0,1]
	v_pk_fma_f16 v47, 0x388b, v36, v47 op_sel:[0,0,1] op_sel_hi:[0,1,0]
	v_add_f16_e32 v5, v44, v5
	v_add_f16_sdwa v28, v45, v28 dst_sel:DWORD dst_unused:UNUSED_PAD src0_sel:WORD_1 src1_sel:DWORD
	v_add_f16_e32 v5, v46, v5
	v_add_f16_sdwa v28, v47, v28 dst_sel:DWORD dst_unused:UNUSED_PAD src0_sel:WORD_1 src1_sel:DWORD
	v_cmpx_gt_u32_e32 18, v2
	s_cbranch_execz .LBB0_13
; %bb.12:
	v_mul_f16_e32 v43, 0xb94e, v37
	v_lshrrev_b32_e32 v56, 16, v42
	v_mul_f16_e32 v57, 0x3bf1, v35
	v_lshrrev_b32_e32 v58, 16, v41
	v_mov_b32_e32 v59, 0xb94e
	v_mul_f16_e32 v62, 0xba95, v34
	v_fmamk_f16 v60, v56, 0xb9fd, v43
	v_lshrrev_b32_e32 v63, 16, v40
	v_fmamk_f16 v61, v58, 0x2fb7, v57
	v_mov_b32_e32 v64, 0x3bf1
	v_mul_f16_sdwa v65, v37, v59 dst_sel:DWORD dst_unused:UNUSED_PAD src0_sel:WORD_1 src1_sel:DWORD
	v_add_f16_sdwa v60, v30, v60 dst_sel:DWORD dst_unused:UNUSED_PAD src0_sel:WORD_1 src1_sel:DWORD
	v_fmamk_f16 v66, v63, 0x388b, v62
	v_lshrrev_b32_e32 v69, 16, v39
	v_mul_f16_sdwa v67, v35, v64 dst_sel:DWORD dst_unused:UNUSED_PAD src0_sel:WORD_1 src1_sel:DWORD
	v_fma_f16 v68, v42, 0xb9fd, -v65
	v_add_f16_e32 v60, v61, v60
	v_mul_f16_e32 v61, 0x33a8, v32
	v_mov_b32_e32 v71, 0xba95
	v_fma_f16 v70, v41, 0x2fb7, -v67
	v_add_f16_e32 v68, v30, v68
	v_add_f16_e32 v60, v66, v60
	v_fmamk_f16 v66, v69, 0xbbc4, v61
	v_mul_f16_e32 v72, 0x3770, v33
	v_lshrrev_b32_e32 v73, 16, v38
	v_add_f16_e32 v68, v70, v68
	v_mov_b32_e32 v70, 0x33a8
	v_add_f16_e32 v60, v66, v60
	v_mul_f16_sdwa v66, v34, v71 dst_sel:DWORD dst_unused:UNUSED_PAD src0_sel:WORD_1 src1_sel:DWORD
	v_fmamk_f16 v74, v73, 0x3b15, v72
	v_mul_f16_e32 v75, 0xbb7b, v31
	v_lshrrev_b32_e32 v76, 16, v36
	v_mul_f16_sdwa v70, v32, v70 dst_sel:DWORD dst_unused:UNUSED_PAD src0_sel:WORD_1 src1_sel:DWORD
	v_fma_f16 v77, v40, 0x388b, -v66
	v_add_f16_e32 v60, v74, v60
	v_fma_f16 v78, v56, 0xb9fd, -v43
	v_fmamk_f16 v74, v76, 0xb5ac, v75
	v_fmac_f16_e32 v65, 0xb9fd, v42
	v_add_f16_e32 v68, v77, v68
	v_fma_f16 v77, v39, 0xbbc4, -v70
	v_fma_f16 v57, v58, 0x2fb7, -v57
	v_add_f16_e32 v43, v74, v60
	v_mov_b32_e32 v60, 0x3770
	v_add_f16_sdwa v74, v30, v78 dst_sel:DWORD dst_unused:UNUSED_PAD src0_sel:WORD_1 src1_sel:DWORD
	v_add_f16_e32 v68, v77, v68
	v_mov_b32_e32 v78, 0xbb7b
	v_add_f16_e32 v65, v30, v65
	v_mul_f16_sdwa v77, v33, v60 dst_sel:DWORD dst_unused:UNUSED_PAD src0_sel:WORD_1 src1_sel:DWORD
	v_fmac_f16_e32 v67, 0x2fb7, v41
	v_add_f16_e32 v57, v57, v74
	v_fma_f16 v62, v63, 0x388b, -v62
	v_mul_f16_sdwa v79, v31, v78 dst_sel:DWORD dst_unused:UNUSED_PAD src0_sel:WORD_1 src1_sel:DWORD
	v_fma_f16 v74, v38, 0x3b15, -v77
	v_add_f16_e32 v65, v67, v65
	v_fmac_f16_e32 v66, 0x388b, v40
	v_add_f16_e32 v57, v62, v57
	v_fma_f16 v61, v69, 0xbbc4, -v61
	v_add_f16_e32 v62, v74, v68
	v_fma_f16 v67, v36, 0xb5ac, -v79
	v_add_f16_e32 v65, v66, v65
	v_mul_f16_e32 v66, 0x2fb7, v56
	v_add_f16_e32 v57, v61, v57
	v_fma_f16 v61, v73, 0x3b15, -v72
	v_fmac_f16_e32 v70, 0xbbc4, v39
	v_add_f16_e32 v62, v67, v62
	v_mul_f16_e32 v67, 0xbbc4, v58
	v_fma_f16 v68, v76, 0xb5ac, -v75
	v_add_f16_e32 v57, v61, v57
	v_fmamk_f16 v61, v37, 0x3bf1, v66
	v_add_f16_e32 v65, v70, v65
	v_fmamk_f16 v70, v35, 0x33a8, v67
	v_mul_f16_e32 v72, 0xb5ac, v63
	v_add_f16_e32 v57, v68, v57
	v_add_f16_sdwa v61, v30, v61 dst_sel:DWORD dst_unused:UNUSED_PAD src0_sel:WORD_1 src1_sel:DWORD
	v_bfi_b32 v49, 0xffff, v51, v49
	v_mul_f16_e32 v68, 0x3b15, v69
	v_bfi_b32 v48, 0xffff, v50, v48
	v_bfi_b32 v50, 0xffff, v53, v52
	v_add_f16_e32 v51, v70, v61
	v_fmamk_f16 v61, v34, 0xbb7b, v72
	v_bfi_b32 v52, 0xffff, v55, v54
	v_fmamk_f16 v53, v32, 0xb770, v68
	v_mul_f16_e32 v54, 0x388b, v73
	v_bfi_b32 v44, 0xffff, v45, v44
	v_add_f16_e32 v51, v61, v51
	v_bfi_b32 v45, 0xffff, v47, v46
	v_mov_b32_e32 v46, 0xbbf1
	v_pk_add_f16 v14, v30, v14
	v_mov_b32_e32 v55, 0xb3a8
	v_add_f16_e32 v47, v53, v51
	v_fmamk_f16 v51, v33, 0x3a95, v54
	v_mul_f16_e32 v53, 0xb9fd, v76
	v_mul_f16_sdwa v46, v37, v46 dst_sel:DWORD dst_unused:UNUSED_PAD src0_sel:WORD_1 src1_sel:DWORD
	v_pk_add_f16 v14, v14, v15
	v_mul_f16_sdwa v61, v35, v55 dst_sel:DWORD dst_unused:UNUSED_PAD src0_sel:WORD_1 src1_sel:DWORD
	v_add_f16_e32 v47, v51, v47
	v_fmamk_f16 v51, v31, 0x394e, v53
	v_fmamk_f16 v15, v42, 0x2fb7, v46
	v_mov_b32_e32 v70, 0x3b7b
	v_fmac_f16_e32 v77, 0x3b15, v38
	v_pk_add_f16 v12, v14, v12
	v_add_f16_e32 v47, v51, v47
	v_mul_f16_e32 v51, 0x388b, v56
	v_add_f16_e32 v15, v30, v15
	v_fmamk_f16 v56, v41, 0xbbc4, v61
	v_mul_f16_sdwa v70, v34, v70 dst_sel:DWORD dst_unused:UNUSED_PAD src0_sel:WORD_1 src1_sel:DWORD
	v_mul_f16_e32 v58, 0xb5ac, v58
	v_fmamk_f16 v14, v37, 0x3a95, v51
	v_mul_f16_sdwa v74, v32, v60 dst_sel:DWORD dst_unused:UNUSED_PAD src0_sel:WORD_1 src1_sel:DWORD
	v_add_f16_e32 v15, v56, v15
	v_fmamk_f16 v56, v40, 0xb5ac, v70
	v_add_f16_e32 v65, v77, v65
	v_add_f16_sdwa v14, v30, v14 dst_sel:DWORD dst_unused:UNUSED_PAD src0_sel:WORD_1 src1_sel:DWORD
	v_fmamk_f16 v75, v35, 0x3b7b, v58
	v_mul_f16_e32 v63, 0xbbc4, v63
	v_add_f16_e32 v15, v56, v15
	v_fmamk_f16 v56, v39, 0x3b15, v74
	v_mul_f16_sdwa v77, v33, v71 dst_sel:DWORD dst_unused:UNUSED_PAD src0_sel:WORD_1 src1_sel:DWORD
	v_add_f16_e32 v14, v75, v14
	v_fmamk_f16 v75, v34, 0x33a8, v63
	v_mul_f16_e32 v69, 0xb9fd, v69
	v_add_f16_e32 v15, v56, v15
	v_fmamk_f16 v56, v38, 0x388b, v77
	v_mul_f16_sdwa v59, v31, v59 dst_sel:DWORD dst_unused:UNUSED_PAD src0_sel:WORD_1 src1_sel:DWORD
	v_add_f16_e32 v14, v75, v14
	;; [unrolled: 6-line block ×3, first 2 shown]
	v_fmamk_f16 v75, v33, 0xbbf1, v73
	v_pk_add_f16 v12, v12, v13
	v_add_f16_e32 v13, v56, v15
	v_fmamk_f16 v15, v42, 0x388b, v71
	v_mul_f16_sdwa v56, v35, v78 dst_sel:DWORD dst_unused:UNUSED_PAD src0_sel:WORD_1 src1_sel:DWORD
	v_fmac_f16_e32 v66, 0xbbf1, v37
	v_add_f16_e32 v14, v75, v14
	v_mul_f16_e32 v75, 0x3b15, v76
	v_add_f16_e32 v15, v30, v15
	v_fmamk_f16 v76, v41, 0xb5ac, v56
	v_mul_f16_sdwa v55, v34, v55 dst_sel:DWORD dst_unused:UNUSED_PAD src0_sel:WORD_1 src1_sel:DWORD
	v_mov_b32_e32 v78, 0x394e
	v_add_f16_sdwa v66, v30, v66 dst_sel:DWORD dst_unused:UNUSED_PAD src0_sel:WORD_1 src1_sel:DWORD
	v_fmac_f16_e32 v67, 0xb3a8, v35
	v_add_f16_e32 v15, v76, v15
	v_fmamk_f16 v76, v40, 0xbbc4, v55
	v_mul_f16_sdwa v78, v32, v78 dst_sel:DWORD dst_unused:UNUSED_PAD src0_sel:WORD_1 src1_sel:DWORD
	v_fmac_f16_e32 v72, 0x3b7b, v34
	v_add_f16_e32 v66, v67, v66
	v_mul_f16_sdwa v64, v33, v64 dst_sel:DWORD dst_unused:UNUSED_PAD src0_sel:WORD_1 src1_sel:DWORD
	v_add_f16_e32 v15, v76, v15
	v_fmamk_f16 v67, v39, 0xb9fd, v78
	v_fmac_f16_e32 v68, 0x3770, v32
	v_add_f16_e32 v66, v72, v66
	v_fma_f16 v46, v42, 0x2fb7, -v46
	v_mul_f16_sdwa v60, v31, v60 dst_sel:DWORD dst_unused:UNUSED_PAD src0_sel:WORD_1 src1_sel:DWORD
	v_add_f16_e32 v15, v67, v15
	v_fmamk_f16 v67, v38, 0x2fb7, v64
	v_add_f16_e32 v66, v68, v66
	v_fmac_f16_e32 v54, 0xba95, v33
	v_add_f16_e32 v46, v30, v46
	v_fma_f16 v61, v41, 0xbbc4, -v61
	v_add_f16_e32 v15, v67, v15
	v_fmamk_f16 v67, v36, 0x3b15, v60
	v_fmac_f16_e32 v51, 0xba95, v37
	v_add_f16_e32 v54, v54, v66
	v_add_f16_e32 v46, v61, v46
	v_fma_f16 v61, v40, 0xb5ac, -v70
	v_fmac_f16_e32 v53, 0xb94e, v31
	v_add_f16_sdwa v51, v30, v51 dst_sel:DWORD dst_unused:UNUSED_PAD src0_sel:WORD_1 src1_sel:DWORD
	v_fmac_f16_e32 v58, 0xbb7b, v35
	v_add_f16_e32 v15, v67, v15
	v_add_f16_e32 v46, v61, v46
	v_fma_f16 v61, v39, 0x3b15, -v74
	v_add_f16_e32 v53, v53, v54
	v_pk_mul_f16 v54, 0xb770, v37 op_sel_hi:[0,1]
	v_fma_f16 v67, v42, 0x388b, -v71
	v_add_f16_e32 v51, v58, v51
	v_fmac_f16_e32 v63, 0xb3a8, v34
	v_add_f16_e32 v46, v61, v46
	v_pk_mul_f16 v61, 0xba95, v35 op_sel_hi:[0,1]
	v_add_f16_e32 v67, v30, v67
	v_fma_f16 v56, v41, 0xb5ac, -v56
	v_pk_add_f16 v10, v12, v10
	v_pk_fma_f16 v12, 0x3b15, v42, v54 op_sel:[0,0,1] op_sel_hi:[0,1,0]
	v_pk_fma_f16 v54, 0x3b15, v42, v54 op_sel:[0,0,1] op_sel_hi:[0,1,0] neg_lo:[0,0,1] neg_hi:[0,0,1]
	v_fma_f16 v58, v38, 0x388b, -v77
	v_add_f16_e32 v51, v63, v51
	v_pk_mul_f16 v63, 0xbbf1, v34 op_sel_hi:[0,1]
	v_add_f16_e32 v56, v56, v67
	v_fma_f16 v55, v40, 0xbbc4, -v55
	v_pk_add_f16 v10, v10, v11
	v_bfi_b32 v11, 0xffff, v12, v54
	v_pk_fma_f16 v67, 0x388b, v41, v61 op_sel:[0,0,1] op_sel_hi:[0,1,0]
	v_pk_fma_f16 v61, 0x388b, v41, v61 op_sel:[0,0,1] op_sel_hi:[0,1,0] neg_lo:[0,0,1] neg_hi:[0,0,1]
	v_add_f16_e32 v46, v58, v46
	v_pk_mul_f16 v58, 0xbb7b, v32 op_sel_hi:[0,1]
	v_add_f16_e32 v55, v55, v56
	v_fma_f16 v56, v39, 0xb9fd, -v78
	v_pk_add_f16 v8, v10, v8
	v_pk_add_f16 v10, v30, v11
	v_bfi_b32 v11, 0xffff, v67, v61
	v_pk_fma_f16 v68, 0x2fb7, v40, v63 op_sel:[0,0,1] op_sel_hi:[0,1,0]
	v_pk_fma_f16 v63, 0x2fb7, v40, v63 op_sel:[0,0,1] op_sel_hi:[0,1,0] neg_lo:[0,0,1] neg_hi:[0,0,1]
	v_fma_f16 v59, v36, 0xb9fd, -v59
	v_pk_mul_f16 v66, 0xb94e, v33 op_sel_hi:[0,1]
	v_add_f16_e32 v55, v56, v55
	v_fma_f16 v56, v38, 0x2fb7, -v64
	v_pk_add_f16 v8, v8, v9
	v_pk_add_f16 v9, v11, v10
	v_bfi_b32 v10, 0xffff, v68, v63
	v_pk_fma_f16 v11, 0xb5ac, v39, v58 op_sel:[0,0,1] op_sel_hi:[0,1,0]
	v_pk_fma_f16 v58, 0xb5ac, v39, v58 op_sel:[0,0,1] op_sel_hi:[0,1,0] neg_lo:[0,0,1] neg_hi:[0,0,1]
	v_add_f16_e32 v46, v59, v46
	v_pk_mul_f16 v59, 0xb3a8, v31 op_sel_hi:[0,1]
	v_add_f16_e32 v55, v56, v55
	v_fma_f16 v56, v36, 0x3b15, -v60
	v_pk_add_f16 v6, v8, v6
	v_pk_add_f16 v8, v10, v9
	v_bfi_b32 v9, 0xffff, v11, v58
	v_pk_fma_f16 v10, 0xb9fd, v38, v66 op_sel:[0,0,1] op_sel_hi:[0,1,0]
	v_pk_fma_f16 v60, 0xb9fd, v38, v66 op_sel:[0,0,1] op_sel_hi:[0,1,0] neg_lo:[0,0,1] neg_hi:[0,0,1]
	v_fmac_f16_e32 v79, 0xb5ac, v36
	v_pk_add_f16 v6, v6, v7
	v_pk_add_f16 v7, v9, v8
	v_pk_fma_f16 v9, 0xbbc4, v36, v59 op_sel:[0,0,1] op_sel_hi:[0,1,0]
	v_bfi_b32 v8, 0xffff, v10, v60
	v_pk_fma_f16 v59, 0xbbc4, v36, v59 op_sel:[0,0,1] op_sel_hi:[0,1,0] neg_lo:[0,0,1] neg_hi:[0,0,1]
	v_add_f16_e32 v65, v79, v65
	v_fmamk_f16 v79, v31, 0xb770, v75
	v_add_f16_e32 v55, v56, v55
	v_mul_u32_u24_e32 v56, 48, v2
	v_pk_mul_f16 v42, 0xbbc4, v42 op_sel_hi:[0,1]
	v_pk_add_f16 v3, v6, v3
	v_pk_add_f16 v6, v8, v7
	v_bfi_b32 v7, 0xffff, v9, v59
	v_add_f16_e32 v14, v79, v14
	v_add3_u32 v56, v27, v56, v29
	v_pk_fma_f16 v8, 0xb3a8, v37, v42 op_sel:[0,0,1] op_sel_hi:[0,1,0]
	v_alignbit_b32 v64, s0, v30, 16
	v_pk_mul_f16 v41, 0x3b15, v41 op_sel_hi:[0,1]
	v_pk_add_f16 v3, v3, v4
	v_pk_add_f16 v4, v7, v6
	v_pack_b32_f16 v13, v13, v47
	v_pack_b32_f16 v14, v15, v14
	v_pk_add_f16 v6, v30, v49
	v_pk_add_f16 v7, v64, v8
	v_pk_fma_f16 v49, 0x3770, v35, v41 op_sel:[0,0,1] op_sel_hi:[0,1,0]
	v_pk_mul_f16 v40, 0xb9fd, v40 op_sel_hi:[0,1]
	ds_write2_b32 v56, v3, v4 offset1:1
	ds_write2_b32 v56, v14, v13 offset0:2 offset1:3
	v_pk_fma_f16 v13, 0xb3a8, v37, v42 op_sel:[0,0,1] op_sel_hi:[0,1,0] neg_lo:[0,1,0] neg_hi:[0,1,0]
	v_alignbit_b32 v8, s0, v8, 16
	v_pk_add_f16 v6, v48, v6
	v_pk_add_f16 v7, v49, v7
	v_pk_fma_f16 v15, 0xb94e, v34, v40 op_sel:[0,0,1] op_sel_hi:[0,1,0]
	v_pk_mul_f16 v39, 0x388b, v39 op_sel_hi:[0,1]
	v_pk_add_f16 v13, v30, v13 op_sel:[1,0] op_sel_hi:[0,1]
	v_pk_fma_f16 v35, 0x3770, v35, v41 op_sel:[0,0,1] op_sel_hi:[0,1,0] neg_lo:[0,1,0] neg_hi:[0,1,0]
	v_pk_add_f16 v8, v30, v8
	v_alignbit_b32 v37, s0, v49, 16
	v_pk_add_f16 v3, v50, v6
	v_pk_add_f16 v4, v15, v7
	v_pk_fma_f16 v6, 0x3a95, v32, v39 op_sel:[0,0,1] op_sel_hi:[0,1,0]
	v_pk_mul_f16 v7, 0xb5ac, v38 op_sel_hi:[0,1]
	v_pk_add_f16 v13, v35, v13
	v_pk_fma_f16 v34, 0xb94e, v34, v40 op_sel:[0,0,1] op_sel_hi:[0,1,0] neg_lo:[0,1,0] neg_hi:[0,1,0]
	v_pk_add_f16 v8, v37, v8
	v_alignbit_b32 v15, s0, v15, 16
	v_bfi_b32 v12, 0xffff, v54, v12
	v_fmac_f16_e32 v69, 0x394e, v32
	v_pk_add_f16 v4, v6, v4
	v_pk_fma_f16 v14, 0xbb7b, v33, v7 op_sel:[0,0,1] op_sel_hi:[0,1,0]
	v_pk_mul_f16 v36, 0x2fb7, v36 op_sel_hi:[0,1]
	v_pk_add_f16 v13, v34, v13
	v_pk_fma_f16 v32, 0x3a95, v32, v39 op_sel:[0,0,1] op_sel_hi:[0,1,0] neg_lo:[0,1,0] neg_hi:[0,1,0]
	v_pk_add_f16 v8, v15, v8
	v_alignbit_b32 v6, s0, v6, 16
	v_pk_add_f16 v12, v30, v12
	v_bfi_b32 v15, 0xffff, v61, v67
	v_pk_add_f16 v4, v14, v4
	v_pk_fma_f16 v35, 0x3bf1, v31, v36 op_sel:[0,0,1] op_sel_hi:[0,1,0]
	v_pk_add_f16 v13, v32, v13
	v_pk_fma_f16 v7, 0xbb7b, v33, v7 op_sel:[0,0,1] op_sel_hi:[0,1,0] neg_lo:[0,1,0] neg_hi:[0,1,0]
	v_pk_add_f16 v6, v6, v8
	v_alignbit_b32 v8, s0, v14, 16
	v_pk_add_f16 v12, v15, v12
	v_bfi_b32 v14, 0xffff, v63, v68
	v_add_f16_e32 v51, v69, v51
	v_fmac_f16_e32 v73, 0x3bf1, v33
	v_pk_add_f16 v7, v7, v13
	v_pk_fma_f16 v13, 0x3bf1, v31, v36 op_sel:[0,0,1] op_sel_hi:[0,1,0] neg_lo:[0,1,0] neg_hi:[0,1,0]
	v_pk_add_f16 v6, v8, v6
	v_alignbit_b32 v8, s0, v35, 16
	v_pk_add_f16 v12, v14, v12
	v_bfi_b32 v11, 0xffff, v58, v11
	v_pk_add_f16 v3, v52, v3
	v_add_f16_e32 v51, v73, v51
	v_fmac_f16_e32 v75, 0x3770, v31
	v_pk_add_f16 v4, v35, v4
	v_pk_add_f16 v7, v13, v7
	;; [unrolled: 1-line block ×4, first 2 shown]
	v_bfi_b32 v10, 0xffff, v60, v10
	v_pk_add_f16 v3, v44, v3
	v_add_f16_e32 v51, v75, v51
	v_alignbit_b32 v4, v4, v7, 16
	v_pack_b32_f16 v6, v6, v7
	v_pk_add_f16 v7, v10, v8
	v_bfi_b32 v8, 0xffff, v59, v9
	v_pk_add_f16 v3, v45, v3
	v_pack_b32_f16 v11, v65, v57
	v_pack_b32_f16 v9, v62, v43
	v_perm_b32 v10, v28, v5, 0x5040100
	v_pack_b32_f16 v12, v55, v51
	v_pack_b32_f16 v13, v46, v53
	v_pk_add_f16 v7, v8, v7
	ds_write2_b32 v56, v3, v11 offset0:4 offset1:5
	ds_write2_b32 v56, v6, v4 offset0:6 offset1:7
	;; [unrolled: 1-line block ×4, first 2 shown]
	ds_write_b32 v56, v7 offset:48
.LBB0_13:
	s_or_b32 exec_lo, exec_lo, s1
	v_add_nc_u32_e32 v6, -13, v2
	v_cmp_gt_u32_e64 s0, 13, v2
	v_mov_b32_e32 v3, 0
	s_waitcnt lgkmcnt(0)
	s_barrier
	buffer_gl0_inv
	v_cndmask_b32_e64 v4, v6, v2, s0
	v_mov_b32_e32 v8, v3
	v_lshlrev_b32_e32 v7, 3, v4
	v_lshlrev_b32_e32 v4, 2, v4
	v_lshlrev_b64 v[7:8], 2, v[7:8]
	v_add_co_u32 v11, s1, s8, v7
	v_add_co_ci_u32_e64 v12, s1, s9, v8, s1
	v_cmp_lt_u32_e64 s1, 12, v2
	s_clause 0x1
	global_load_dwordx4 v[7:10], v[11:12], off
	global_load_dwordx4 v[11:14], v[11:12], off offset:16
	ds_read2_b32 v[30:31], v26 offset0:130 offset1:156
	ds_read2_b32 v[32:33], v26 offset0:182 offset1:208
	;; [unrolled: 1-line block ×4, first 2 shown]
	ds_read_b32 v15, v25
	v_cndmask_b32_e64 v38, 0, 0x1d4, s1
	s_waitcnt vmcnt(0) lgkmcnt(0)
	s_barrier
	buffer_gl0_inv
	v_add_nc_u32_e32 v38, 0, v38
	v_add3_u32 v29, v38, v4, v29
	v_lshrrev_b32_e32 v44, 16, v30
	v_lshrrev_b32_e32 v38, 16, v32
	;; [unrolled: 1-line block ×9, first 2 shown]
	v_mul_f16_sdwa v46, v7, v40 dst_sel:DWORD dst_unused:UNUSED_PAD src0_sel:WORD_1 src1_sel:DWORD
	v_mul_f16_sdwa v47, v7, v34 dst_sel:DWORD dst_unused:UNUSED_PAD src0_sel:WORD_1 src1_sel:DWORD
	;; [unrolled: 1-line block ×8, first 2 shown]
	v_mul_f16_sdwa v58, v38, v13 dst_sel:DWORD dst_unused:UNUSED_PAD src0_sel:DWORD src1_sel:WORD_1
	v_mul_f16_sdwa v59, v32, v13 dst_sel:DWORD dst_unused:UNUSED_PAD src0_sel:DWORD src1_sel:WORD_1
	;; [unrolled: 1-line block ×4, first 2 shown]
	v_mul_f16_sdwa v50, v9, v42 dst_sel:DWORD dst_unused:UNUSED_PAD src0_sel:WORD_1 src1_sel:DWORD
	v_mul_f16_sdwa v51, v9, v36 dst_sel:DWORD dst_unused:UNUSED_PAD src0_sel:WORD_1 src1_sel:DWORD
	v_mul_f16_sdwa v56, v4, v12 dst_sel:DWORD dst_unused:UNUSED_PAD src0_sel:DWORD src1_sel:WORD_1
	v_mul_f16_sdwa v57, v31, v12 dst_sel:DWORD dst_unused:UNUSED_PAD src0_sel:DWORD src1_sel:WORD_1
	v_fmac_f16_e32 v46, v7, v34
	v_fma_f16 v7, v7, v40, -v47
	v_fmac_f16_e32 v48, v8, v35
	v_fma_f16 v8, v8, v41, -v49
	;; [unrolled: 2-line block ×8, first 2 shown]
	v_add_f16_e32 v12, v46, v60
	v_add_f16_e32 v30, v7, v14
	;; [unrolled: 1-line block ×4, first 2 shown]
	v_sub_f16_e32 v7, v7, v14
	v_sub_f16_e32 v36, v10, v11
	v_add_f16_e32 v33, v50, v56
	v_add_f16_e32 v34, v9, v4
	v_sub_f16_e32 v35, v46, v60
	v_sub_f16_e32 v8, v8, v13
	v_add_f16_e32 v37, v52, v54
	v_add_f16_e32 v38, v10, v11
	v_mul_f16_e32 v40, 0x3924, v7
	v_mul_f16_e32 v44, 0xb924, v36
	v_add_f16_e32 v53, v31, v12
	v_add_f16_e32 v55, v32, v30
	v_mul_f16_e32 v57, 0x3be1, v36
	v_sub_f16_e32 v14, v48, v58
	v_sub_f16_e32 v4, v9, v4
	v_mul_f16_e32 v39, 0x3924, v35
	v_fmac_f16_e32 v40, 0x3be1, v8
	v_fmac_f16_e32 v44, 0x3be1, v7
	v_add_f16_e32 v58, v37, v53
	v_add_f16_e32 v59, v38, v55
	v_fma_f16 v57, v8, 0xb924, -v57
	v_add_f16_e32 v53, v33, v53
	v_add_f16_e32 v55, v34, v55
	v_sub_f16_e32 v13, v50, v56
	v_add_f16_e32 v49, v36, v7
	v_fmac_f16_e32 v39, 0x3be1, v14
	v_fmac_f16_e32 v40, 0x3aee, v4
	;; [unrolled: 1-line block ×4, first 2 shown]
	v_add_f16_e32 v4, v52, v53
	v_add_f16_e32 v10, v10, v55
	v_sub_f16_e32 v9, v52, v54
	v_sub_f16_e32 v49, v49, v8
	v_fmac_f16_e32 v39, 0x3aee, v13
	v_fmac_f16_e32 v44, 0x3579, v8
	v_add_f16_e32 v4, v54, v4
	v_add_f16_e32 v8, v11, v10
	v_mul_f16_e32 v43, 0xb924, v9
	v_fmamk_f16 v46, v37, 0x3a21, v15
	v_fmamk_f16 v47, v38, 0x3a21, v45
	;; [unrolled: 1-line block ×4, first 2 shown]
	v_add_f16_e32 v48, v9, v35
	v_add_f16_e32 v50, v33, v15
	;; [unrolled: 1-line block ×3, first 2 shown]
	v_mul_f16_e32 v56, 0x3be1, v9
	v_fmac_f16_e32 v39, 0x3579, v9
	v_add_f16_e32 v9, v15, v4
	v_add_f16_e32 v8, v45, v8
	v_fmac_f16_e32 v15, 0x3a21, v31
	v_fmac_f16_e32 v45, 0x3a21, v32
	;; [unrolled: 1-line block ×7, first 2 shown]
	v_fma_f16 v56, v14, 0xb924, -v56
	v_fmac_f16_e32 v15, 0x318f, v37
	v_fmac_f16_e32 v45, 0x318f, v38
	;; [unrolled: 1-line block ×3, first 2 shown]
	v_fmac_f16_e32 v46, -0.5, v33
	v_fmac_f16_e32 v47, -0.5, v34
	;; [unrolled: 1-line block ×4, first 2 shown]
	v_fmac_f16_e32 v56, 0x3aee, v13
	v_fmac_f16_e32 v15, -0.5, v33
	v_fmac_f16_e32 v45, -0.5, v34
	v_sub_f16_e32 v48, v48, v14
	v_fmac_f16_e32 v50, -0.5, v58
	v_fmac_f16_e32 v51, -0.5, v59
	v_fmac_f16_e32 v43, 0x3579, v14
	v_fmac_f16_e32 v46, 0xbb84, v31
	;; [unrolled: 1-line block ×10, first 2 shown]
	v_mul_f16_e32 v60, 0x3aee, v48
	v_mul_f16_e32 v61, 0x3aee, v49
	v_fmac_f16_e32 v50, 0xbaee, v49
	v_fmac_f16_e32 v51, 0x3aee, v48
	v_sub_f16_e32 v11, v46, v44
	v_add_f16_e32 v14, v43, v47
	v_sub_f16_e32 v7, v41, v40
	v_add_f16_e32 v10, v39, v42
	;; [unrolled: 2-line block ×3, first 2 shown]
	v_fma_f16 v31, 2.0, v61, v50
	v_fma_f16 v32, -2.0, v60, v51
	v_fma_f16 v12, 2.0, v44, v11
	v_fma_f16 v30, -2.0, v43, v14
	;; [unrolled: 2-line block ×3, first 2 shown]
	v_pack_b32_f16 v8, v9, v8
	v_pack_b32_f16 v7, v7, v10
	;; [unrolled: 1-line block ×3, first 2 shown]
	v_fma_f16 v10, 2.0, v57, v15
	v_fma_f16 v11, -2.0, v56, v34
	v_pack_b32_f16 v33, v50, v51
	v_pack_b32_f16 v14, v31, v32
	;; [unrolled: 1-line block ×6, first 2 shown]
	ds_write2_b32 v29, v8, v7 offset1:13
	ds_write2_b32 v29, v9, v33 offset0:26 offset1:39
	ds_write2_b32 v29, v14, v12 offset0:78 offset1:91
	ds_write_b32 v29, v30 offset:416
	ds_write2_b32 v29, v15, v10 offset0:52 offset1:65
	s_waitcnt lgkmcnt(0)
	s_barrier
	buffer_gl0_inv
	ds_read2_b32 v[7:8], v26 offset0:78 offset1:117
	ds_read2_b32 v[9:10], v26 offset0:26 offset1:52
	;; [unrolled: 1-line block ×3, first 2 shown]
	ds_read_b32 v14, v25
	ds_read_b32 v15, v26 offset:780
	s_and_saveexec_b32 s1, s0
	s_cbranch_execz .LBB0_15
; %bb.14:
	ds_read2_b32 v[4:5], v26 offset0:104 offset1:221
	v_mov_b32_e32 v6, v20
	s_waitcnt lgkmcnt(0)
	v_lshrrev_b32_e32 v13, 16, v4
	v_lshrrev_b32_e32 v28, 16, v5
.LBB0_15:
	s_or_b32 exec_lo, exec_lo, s1
	v_lshlrev_b64 v[29:30], 2, v[2:3]
	v_lshl_add_u32 v24, v24, 2, v27
	v_add_co_u32 v29, s1, s8, v29
	v_add_co_ci_u32_e64 v30, s1, s9, v30, s1
	s_clause 0x3
	global_load_dword v3, v[29:30], off offset:416
	global_load_dword v31, v[29:30], off offset:520
	;; [unrolled: 1-line block ×4, first 2 shown]
	s_waitcnt vmcnt(0) lgkmcnt(0)
	s_barrier
	buffer_gl0_inv
	v_pk_mul_f16 v30, v3, v8 op_sel:[0,1]
	v_pk_mul_f16 v33, v31, v11 op_sel:[0,1]
	;; [unrolled: 1-line block ×4, first 2 shown]
	v_pk_fma_f16 v36, v3, v8, v30 op_sel:[0,0,1] op_sel_hi:[1,1,0]
	v_pk_fma_f16 v3, v3, v8, v30 op_sel:[0,0,1] op_sel_hi:[1,0,0] neg_lo:[1,0,0] neg_hi:[1,0,0]
	v_pk_fma_f16 v8, v31, v11, v33 op_sel:[0,0,1] op_sel_hi:[1,1,0]
	v_pk_fma_f16 v11, v31, v11, v33 op_sel:[0,0,1] op_sel_hi:[1,0,0] neg_lo:[1,0,0] neg_hi:[1,0,0]
	;; [unrolled: 2-line block ×4, first 2 shown]
	v_bfi_b32 v3, 0xffff, v36, v3
	v_bfi_b32 v8, 0xffff, v8, v11
	;; [unrolled: 1-line block ×4, first 2 shown]
	v_pk_add_f16 v3, v14, v3 neg_lo:[0,1] neg_hi:[0,1]
	v_pk_add_f16 v8, v9, v8 neg_lo:[0,1] neg_hi:[0,1]
	v_pk_add_f16 v11, v10, v11 neg_lo:[0,1] neg_hi:[0,1]
	v_pk_add_f16 v12, v7, v12 neg_lo:[0,1] neg_hi:[0,1]
	v_pk_fma_f16 v14, v14, 2.0, v3 op_sel_hi:[1,0,1] neg_lo:[0,0,1] neg_hi:[0,0,1]
	v_pk_fma_f16 v9, v9, 2.0, v8 op_sel_hi:[1,0,1] neg_lo:[0,0,1] neg_hi:[0,0,1]
	;; [unrolled: 1-line block ×4, first 2 shown]
	ds_write_b32 v26, v3 offset:468
	ds_write2_b32 v24, v8, v11 offset0:143 offset1:169
	ds_write2_b32 v26, v14, v9 offset1:26
	ds_write2_b32 v26, v10, v7 offset0:52 offset1:78
	ds_write_b32 v24, v12 offset:780
	s_and_saveexec_b32 s1, s0
	s_cbranch_execz .LBB0_17
; %bb.16:
	v_mov_b32_e32 v7, 0
	v_lshlrev_b64 v[6:7], 2, v[6:7]
	v_add_co_u32 v6, s0, s8, v6
	v_add_co_ci_u32_e64 v7, s0, s9, v7, s0
	global_load_dword v3, v[6:7], off offset:416
	s_waitcnt vmcnt(0)
	v_mul_f16_sdwa v6, v28, v3 dst_sel:DWORD dst_unused:UNUSED_PAD src0_sel:DWORD src1_sel:WORD_1
	v_mul_f16_sdwa v7, v5, v3 dst_sel:DWORD dst_unused:UNUSED_PAD src0_sel:DWORD src1_sel:WORD_1
	v_fmac_f16_e32 v6, v5, v3
	v_fma_f16 v3, v28, v3, -v7
	v_sub_f16_e32 v5, v4, v6
	v_sub_f16_e32 v3, v13, v3
	v_fma_f16 v4, v4, 2.0, -v5
	v_fma_f16 v6, v13, 2.0, -v3
	v_pack_b32_f16 v3, v5, v3
	v_pack_b32_f16 v4, v4, v6
	ds_write2_b32 v26, v4, v3 offset0:104 offset1:221
.LBB0_17:
	s_or_b32 exec_lo, exec_lo, s1
	s_waitcnt lgkmcnt(0)
	s_barrier
	buffer_gl0_inv
	s_and_saveexec_b32 s0, vcc_lo
	s_cbranch_execz .LBB0_19
; %bb.18:
	v_mad_u64_u32 v[3:4], null, s2, v2, 0
	v_mad_u64_u32 v[5:6], null, s2, v22, 0
	;; [unrolled: 1-line block ×3, first 2 shown]
	ds_read2_b32 v[9:10], v25 offset1:26
	v_mad_u64_u32 v[11:12], null, s3, v2, v[4:5]
	v_mov_b32_e32 v2, v8
	v_mad_u64_u32 v[12:13], null, s2, v21, 0
	v_mad_u64_u32 v[14:15], null, s3, v22, v[6:7]
	;; [unrolled: 1-line block ×3, first 2 shown]
	v_mov_b32_e32 v4, v11
	v_add_co_u32 v23, vcc_lo, s12, v0
	v_add_co_ci_u32_e32 v24, vcc_lo, s13, v1, vcc_lo
	v_lshlrev_b64 v[0:1], 2, v[3:4]
	v_mov_b32_e32 v4, v13
	v_mov_b32_e32 v6, v14
	ds_read2_b32 v[2:3], v25 offset0:52 offset1:78
	v_mov_b32_e32 v8, v22
	v_mad_u64_u32 v[13:14], null, s3, v21, v[4:5]
	v_lshlrev_b64 v[4:5], 2, v[5:6]
	v_add_co_u32 v0, vcc_lo, v23, v0
	v_lshlrev_b64 v[6:7], 2, v[7:8]
	v_add_co_ci_u32_e32 v1, vcc_lo, v24, v1, vcc_lo
	v_add_co_u32 v4, vcc_lo, v23, v4
	v_add_co_ci_u32_e32 v5, vcc_lo, v24, v5, vcc_lo
	s_waitcnt lgkmcnt(1)
	global_store_dword v[0:1], v9, off
	v_mad_u64_u32 v[0:1], null, s2, v20, 0
	v_add_co_u32 v6, vcc_lo, v23, v6
	v_mad_u64_u32 v[8:9], null, s2, v19, 0
	v_add_co_ci_u32_e32 v7, vcc_lo, v24, v7, vcc_lo
	global_store_dword v[4:5], v10, off
	s_waitcnt lgkmcnt(0)
	global_store_dword v[6:7], v2, off
	v_mad_u64_u32 v[6:7], null, s2, v18, 0
	v_mad_u64_u32 v[1:2], null, s3, v20, v[1:2]
	v_mov_b32_e32 v2, v9
	v_lshlrev_b64 v[4:5], 2, v[12:13]
	v_mad_u64_u32 v[9:10], null, s3, v19, v[2:3]
	v_mov_b32_e32 v2, v7
	v_mad_u64_u32 v[10:11], null, s2, v17, 0
	v_add_co_u32 v4, vcc_lo, v23, v4
	v_mad_u64_u32 v[12:13], null, s3, v18, v[2:3]
	v_add_co_ci_u32_e32 v5, vcc_lo, v24, v5, vcc_lo
	v_mad_u64_u32 v[13:14], null, s2, v16, 0
	v_lshlrev_b64 v[0:1], 2, v[0:1]
	global_store_dword v[4:5], v3, off
	v_mov_b32_e32 v4, v11
	v_mov_b32_e32 v7, v12
	ds_read2_b32 v[2:3], v25 offset0:104 offset1:130
	v_lshlrev_b64 v[8:9], 2, v[8:9]
	v_add_co_u32 v0, vcc_lo, v23, v0
	v_mad_u64_u32 v[4:5], null, s3, v17, v[4:5]
	v_lshlrev_b64 v[6:7], 2, v[6:7]
	v_mov_b32_e32 v5, v14
	ds_read2_b32 v[17:18], v25 offset0:156 offset1:182
	ds_read_b32 v12, v25 offset:832
	v_add_co_ci_u32_e32 v1, vcc_lo, v24, v1, vcc_lo
	v_mad_u64_u32 v[14:15], null, s3, v16, v[5:6]
	v_mov_b32_e32 v11, v4
	v_add_co_u32 v4, vcc_lo, v23, v8
	v_add_co_ci_u32_e32 v5, vcc_lo, v24, v9, vcc_lo
	v_lshlrev_b64 v[8:9], 2, v[10:11]
	v_add_co_u32 v6, vcc_lo, v23, v6
	v_lshlrev_b64 v[10:11], 2, v[13:14]
	v_add_co_ci_u32_e32 v7, vcc_lo, v24, v7, vcc_lo
	v_add_co_u32 v8, vcc_lo, v23, v8
	v_add_co_ci_u32_e32 v9, vcc_lo, v24, v9, vcc_lo
	v_add_co_u32 v10, vcc_lo, v23, v10
	v_add_co_ci_u32_e32 v11, vcc_lo, v24, v11, vcc_lo
	s_waitcnt lgkmcnt(2)
	global_store_dword v[0:1], v2, off
	global_store_dword v[4:5], v3, off
	s_waitcnt lgkmcnt(1)
	global_store_dword v[6:7], v17, off
	global_store_dword v[8:9], v18, off
	s_waitcnt lgkmcnt(0)
	global_store_dword v[10:11], v12, off
.LBB0_19:
	s_endpgm
	.section	.rodata,"a",@progbits
	.p2align	6, 0x0
	.amdhsa_kernel fft_rtc_back_len234_factors_13_9_2_wgs_52_tpt_26_half_ip_CI_sbrr_dirReg
		.amdhsa_group_segment_fixed_size 0
		.amdhsa_private_segment_fixed_size 0
		.amdhsa_kernarg_size 88
		.amdhsa_user_sgpr_count 6
		.amdhsa_user_sgpr_private_segment_buffer 1
		.amdhsa_user_sgpr_dispatch_ptr 0
		.amdhsa_user_sgpr_queue_ptr 0
		.amdhsa_user_sgpr_kernarg_segment_ptr 1
		.amdhsa_user_sgpr_dispatch_id 0
		.amdhsa_user_sgpr_flat_scratch_init 0
		.amdhsa_user_sgpr_private_segment_size 0
		.amdhsa_wavefront_size32 1
		.amdhsa_uses_dynamic_stack 0
		.amdhsa_system_sgpr_private_segment_wavefront_offset 0
		.amdhsa_system_sgpr_workgroup_id_x 1
		.amdhsa_system_sgpr_workgroup_id_y 0
		.amdhsa_system_sgpr_workgroup_id_z 0
		.amdhsa_system_sgpr_workgroup_info 0
		.amdhsa_system_vgpr_workitem_id 0
		.amdhsa_next_free_vgpr 80
		.amdhsa_next_free_sgpr 23
		.amdhsa_reserve_vcc 1
		.amdhsa_reserve_flat_scratch 0
		.amdhsa_float_round_mode_32 0
		.amdhsa_float_round_mode_16_64 0
		.amdhsa_float_denorm_mode_32 3
		.amdhsa_float_denorm_mode_16_64 3
		.amdhsa_dx10_clamp 1
		.amdhsa_ieee_mode 1
		.amdhsa_fp16_overflow 0
		.amdhsa_workgroup_processor_mode 1
		.amdhsa_memory_ordered 1
		.amdhsa_forward_progress 0
		.amdhsa_shared_vgpr_count 0
		.amdhsa_exception_fp_ieee_invalid_op 0
		.amdhsa_exception_fp_denorm_src 0
		.amdhsa_exception_fp_ieee_div_zero 0
		.amdhsa_exception_fp_ieee_overflow 0
		.amdhsa_exception_fp_ieee_underflow 0
		.amdhsa_exception_fp_ieee_inexact 0
		.amdhsa_exception_int_div_zero 0
	.end_amdhsa_kernel
	.text
.Lfunc_end0:
	.size	fft_rtc_back_len234_factors_13_9_2_wgs_52_tpt_26_half_ip_CI_sbrr_dirReg, .Lfunc_end0-fft_rtc_back_len234_factors_13_9_2_wgs_52_tpt_26_half_ip_CI_sbrr_dirReg
                                        ; -- End function
	.section	.AMDGPU.csdata,"",@progbits
; Kernel info:
; codeLenInByte = 7216
; NumSgprs: 25
; NumVgprs: 80
; ScratchSize: 0
; MemoryBound: 0
; FloatMode: 240
; IeeeMode: 1
; LDSByteSize: 0 bytes/workgroup (compile time only)
; SGPRBlocks: 3
; VGPRBlocks: 9
; NumSGPRsForWavesPerEU: 25
; NumVGPRsForWavesPerEU: 80
; Occupancy: 12
; WaveLimiterHint : 1
; COMPUTE_PGM_RSRC2:SCRATCH_EN: 0
; COMPUTE_PGM_RSRC2:USER_SGPR: 6
; COMPUTE_PGM_RSRC2:TRAP_HANDLER: 0
; COMPUTE_PGM_RSRC2:TGID_X_EN: 1
; COMPUTE_PGM_RSRC2:TGID_Y_EN: 0
; COMPUTE_PGM_RSRC2:TGID_Z_EN: 0
; COMPUTE_PGM_RSRC2:TIDIG_COMP_CNT: 0
	.text
	.p2alignl 6, 3214868480
	.fill 48, 4, 3214868480
	.type	__hip_cuid_94632e5eaf32464e,@object ; @__hip_cuid_94632e5eaf32464e
	.section	.bss,"aw",@nobits
	.globl	__hip_cuid_94632e5eaf32464e
__hip_cuid_94632e5eaf32464e:
	.byte	0                               ; 0x0
	.size	__hip_cuid_94632e5eaf32464e, 1

	.ident	"AMD clang version 19.0.0git (https://github.com/RadeonOpenCompute/llvm-project roc-6.4.0 25133 c7fe45cf4b819c5991fe208aaa96edf142730f1d)"
	.section	".note.GNU-stack","",@progbits
	.addrsig
	.addrsig_sym __hip_cuid_94632e5eaf32464e
	.amdgpu_metadata
---
amdhsa.kernels:
  - .args:
      - .actual_access:  read_only
        .address_space:  global
        .offset:         0
        .size:           8
        .value_kind:     global_buffer
      - .offset:         8
        .size:           8
        .value_kind:     by_value
      - .actual_access:  read_only
        .address_space:  global
        .offset:         16
        .size:           8
        .value_kind:     global_buffer
      - .actual_access:  read_only
        .address_space:  global
        .offset:         24
        .size:           8
        .value_kind:     global_buffer
      - .offset:         32
        .size:           8
        .value_kind:     by_value
      - .actual_access:  read_only
        .address_space:  global
        .offset:         40
        .size:           8
        .value_kind:     global_buffer
      - .actual_access:  read_only
        .address_space:  global
        .offset:         48
        .size:           8
        .value_kind:     global_buffer
      - .offset:         56
        .size:           4
        .value_kind:     by_value
      - .actual_access:  read_only
        .address_space:  global
        .offset:         64
        .size:           8
        .value_kind:     global_buffer
      - .actual_access:  read_only
        .address_space:  global
        .offset:         72
        .size:           8
        .value_kind:     global_buffer
      - .address_space:  global
        .offset:         80
        .size:           8
        .value_kind:     global_buffer
    .group_segment_fixed_size: 0
    .kernarg_segment_align: 8
    .kernarg_segment_size: 88
    .language:       OpenCL C
    .language_version:
      - 2
      - 0
    .max_flat_workgroup_size: 52
    .name:           fft_rtc_back_len234_factors_13_9_2_wgs_52_tpt_26_half_ip_CI_sbrr_dirReg
    .private_segment_fixed_size: 0
    .sgpr_count:     25
    .sgpr_spill_count: 0
    .symbol:         fft_rtc_back_len234_factors_13_9_2_wgs_52_tpt_26_half_ip_CI_sbrr_dirReg.kd
    .uniform_work_group_size: 1
    .uses_dynamic_stack: false
    .vgpr_count:     80
    .vgpr_spill_count: 0
    .wavefront_size: 32
    .workgroup_processor_mode: 1
amdhsa.target:   amdgcn-amd-amdhsa--gfx1030
amdhsa.version:
  - 1
  - 2
...

	.end_amdgpu_metadata
